;; amdgpu-corpus repo=ggml-org/llama.cpp kind=compiled arch=gfx1030 opt=O3
	.amdgcn_target "amdgcn-amd-amdhsa--gfx1030"
	.amdhsa_code_object_version 6
	.section	.text._Z9fwht_cudaILi64EEvPKfPflf,"axG",@progbits,_Z9fwht_cudaILi64EEvPKfPflf,comdat
	.protected	_Z9fwht_cudaILi64EEvPKfPflf ; -- Begin function _Z9fwht_cudaILi64EEvPKfPflf
	.globl	_Z9fwht_cudaILi64EEvPKfPflf
	.p2align	8
	.type	_Z9fwht_cudaILi64EEvPKfPflf,@function
_Z9fwht_cudaILi64EEvPKfPflf:            ; @_Z9fwht_cudaILi64EEvPKfPflf
; %bb.0:
	s_clause 0x1
	s_load_dword s2, s[4:5], 0x2c
	s_load_dwordx2 s[0:1], s[4:5], 0x10
	v_mov_b32_e32 v2, 0
	s_waitcnt lgkmcnt(0)
	s_lshr_b32 s2, s2, 16
	v_mad_u64_u32 v[1:2], null, s2, s6, v[1:2]
	v_cmp_gt_i64_e32 vcc_lo, s[0:1], v[1:2]
	s_and_saveexec_b32 s0, vcc_lo
	s_cbranch_execz .LBB0_2
; %bb.1:
	s_load_dwordx4 s[0:3], s[4:5], 0x0
	v_lshlrev_b64 v[1:2], 8, v[1:2]
	v_lshlrev_b32_e32 v5, 2, v0
	s_load_dword s4, s[4:5], 0x18
	v_and_b32_e32 v9, 1, v0
	s_waitcnt lgkmcnt(0)
	v_add_co_u32 v3, vcc_lo, s0, v1
	v_add_co_ci_u32_e64 v4, null, s1, v2, vcc_lo
	v_add_co_u32 v3, vcc_lo, v3, v5
	v_add_co_ci_u32_e64 v4, null, 0, v4, vcc_lo
	s_clause 0x1
	global_load_dword v6, v[3:4], off
	global_load_dword v3, v[3:4], off offset:128
	v_mbcnt_lo_u32_b32 v4, -1, 0
	v_xor_b32_e32 v7, 1, v4
	v_xor_b32_e32 v10, 2, v4
	v_cmp_gt_i32_e32 vcc_lo, 32, v7
	v_cmp_gt_i32_e64 s0, 32, v10
	v_cndmask_b32_e32 v7, v4, v7, vcc_lo
	v_cmp_eq_u32_e32 vcc_lo, 0, v9
	v_cndmask_b32_e64 v9, v4, v10, s0
	v_xor_b32_e32 v10, 4, v4
	v_lshlrev_b32_e32 v7, 2, v7
	v_lshlrev_b32_e32 v9, 2, v9
	v_cmp_gt_i32_e64 s0, 32, v10
	s_waitcnt vmcnt(1)
	v_mul_f32_e32 v6, s4, v6
	s_waitcnt vmcnt(0)
	v_mul_f32_e32 v3, s4, v3
	ds_bpermute_b32 v8, v7, v6
	ds_bpermute_b32 v7, v7, v3
	v_cndmask_b32_e64 v6, -v6, v6, vcc_lo
	v_cndmask_b32_e64 v3, -v3, v3, vcc_lo
	s_waitcnt lgkmcnt(1)
	v_add_f32_e32 v6, v6, v8
	s_waitcnt lgkmcnt(0)
	v_add_f32_e32 v3, v3, v7
	ds_bpermute_b32 v7, v9, v6
	ds_bpermute_b32 v8, v9, v3
	v_and_b32_e32 v9, 2, v0
	v_cmp_eq_u32_e32 vcc_lo, 0, v9
	v_cndmask_b32_e64 v9, v4, v10, s0
	v_xor_b32_e32 v10, 8, v4
	v_cndmask_b32_e64 v6, -v6, v6, vcc_lo
	v_cndmask_b32_e64 v3, -v3, v3, vcc_lo
	v_lshlrev_b32_e32 v9, 2, v9
	v_cmp_gt_i32_e64 s0, 32, v10
	s_waitcnt lgkmcnt(1)
	v_add_f32_e32 v6, v6, v7
	s_waitcnt lgkmcnt(0)
	v_add_f32_e32 v3, v3, v8
	ds_bpermute_b32 v7, v9, v6
	ds_bpermute_b32 v8, v9, v3
	v_and_b32_e32 v9, 4, v0
	v_cmp_eq_u32_e32 vcc_lo, 0, v9
	v_cndmask_b32_e64 v9, v4, v10, s0
	v_xor_b32_e32 v10, 16, v4
	v_cndmask_b32_e64 v6, -v6, v6, vcc_lo
	v_cndmask_b32_e64 v3, -v3, v3, vcc_lo
	v_lshlrev_b32_e32 v9, 2, v9
	v_cmp_gt_i32_e64 s0, 32, v10
	v_cndmask_b32_e64 v4, v4, v10, s0
	s_waitcnt lgkmcnt(1)
	v_add_f32_e32 v6, v6, v7
	s_waitcnt lgkmcnt(0)
	v_add_f32_e32 v3, v3, v8
	v_lshlrev_b32_e32 v4, 2, v4
	ds_bpermute_b32 v7, v9, v6
	ds_bpermute_b32 v8, v9, v3
	v_and_b32_e32 v9, 8, v0
	v_and_b32_e32 v0, 16, v0
	v_cmp_eq_u32_e32 vcc_lo, 0, v9
	v_cndmask_b32_e64 v6, -v6, v6, vcc_lo
	v_cndmask_b32_e64 v3, -v3, v3, vcc_lo
	v_cmp_eq_u32_e32 vcc_lo, 0, v0
	s_waitcnt lgkmcnt(1)
	v_add_f32_e32 v6, v6, v7
	s_waitcnt lgkmcnt(0)
	v_add_f32_e32 v3, v3, v8
	ds_bpermute_b32 v7, v4, v6
	ds_bpermute_b32 v4, v4, v3
	v_cndmask_b32_e64 v0, -v6, v6, vcc_lo
	v_cndmask_b32_e64 v3, -v3, v3, vcc_lo
	v_add_co_u32 v1, vcc_lo, s2, v1
	v_add_co_ci_u32_e64 v2, null, s3, v2, vcc_lo
	s_waitcnt lgkmcnt(1)
	v_add_f32_e32 v6, v0, v7
	s_waitcnt lgkmcnt(0)
	v_add_f32_e32 v3, v3, v4
	v_add_co_u32 v0, vcc_lo, v1, v5
	v_add_co_ci_u32_e64 v1, null, 0, v2, vcc_lo
	v_add_f32_e32 v2, v6, v3
	v_sub_f32_e32 v3, v6, v3
	global_store_dword v[0:1], v2, off
	global_store_dword v[0:1], v3, off offset:128
.LBB0_2:
	s_endpgm
	.section	.rodata,"a",@progbits
	.p2align	6, 0x0
	.amdhsa_kernel _Z9fwht_cudaILi64EEvPKfPflf
		.amdhsa_group_segment_fixed_size 0
		.amdhsa_private_segment_fixed_size 0
		.amdhsa_kernarg_size 288
		.amdhsa_user_sgpr_count 6
		.amdhsa_user_sgpr_private_segment_buffer 1
		.amdhsa_user_sgpr_dispatch_ptr 0
		.amdhsa_user_sgpr_queue_ptr 0
		.amdhsa_user_sgpr_kernarg_segment_ptr 1
		.amdhsa_user_sgpr_dispatch_id 0
		.amdhsa_user_sgpr_flat_scratch_init 0
		.amdhsa_user_sgpr_private_segment_size 0
		.amdhsa_wavefront_size32 1
		.amdhsa_uses_dynamic_stack 0
		.amdhsa_system_sgpr_private_segment_wavefront_offset 0
		.amdhsa_system_sgpr_workgroup_id_x 1
		.amdhsa_system_sgpr_workgroup_id_y 0
		.amdhsa_system_sgpr_workgroup_id_z 0
		.amdhsa_system_sgpr_workgroup_info 0
		.amdhsa_system_vgpr_workitem_id 1
		.amdhsa_next_free_vgpr 11
		.amdhsa_next_free_sgpr 7
		.amdhsa_reserve_vcc 1
		.amdhsa_reserve_flat_scratch 0
		.amdhsa_float_round_mode_32 0
		.amdhsa_float_round_mode_16_64 0
		.amdhsa_float_denorm_mode_32 3
		.amdhsa_float_denorm_mode_16_64 3
		.amdhsa_dx10_clamp 1
		.amdhsa_ieee_mode 1
		.amdhsa_fp16_overflow 0
		.amdhsa_workgroup_processor_mode 1
		.amdhsa_memory_ordered 1
		.amdhsa_forward_progress 1
		.amdhsa_shared_vgpr_count 0
		.amdhsa_exception_fp_ieee_invalid_op 0
		.amdhsa_exception_fp_denorm_src 0
		.amdhsa_exception_fp_ieee_div_zero 0
		.amdhsa_exception_fp_ieee_overflow 0
		.amdhsa_exception_fp_ieee_underflow 0
		.amdhsa_exception_fp_ieee_inexact 0
		.amdhsa_exception_int_div_zero 0
	.end_amdhsa_kernel
	.section	.text._Z9fwht_cudaILi64EEvPKfPflf,"axG",@progbits,_Z9fwht_cudaILi64EEvPKfPflf,comdat
.Lfunc_end0:
	.size	_Z9fwht_cudaILi64EEvPKfPflf, .Lfunc_end0-_Z9fwht_cudaILi64EEvPKfPflf
                                        ; -- End function
	.set _Z9fwht_cudaILi64EEvPKfPflf.num_vgpr, 11
	.set _Z9fwht_cudaILi64EEvPKfPflf.num_agpr, 0
	.set _Z9fwht_cudaILi64EEvPKfPflf.numbered_sgpr, 7
	.set _Z9fwht_cudaILi64EEvPKfPflf.num_named_barrier, 0
	.set _Z9fwht_cudaILi64EEvPKfPflf.private_seg_size, 0
	.set _Z9fwht_cudaILi64EEvPKfPflf.uses_vcc, 1
	.set _Z9fwht_cudaILi64EEvPKfPflf.uses_flat_scratch, 0
	.set _Z9fwht_cudaILi64EEvPKfPflf.has_dyn_sized_stack, 0
	.set _Z9fwht_cudaILi64EEvPKfPflf.has_recursion, 0
	.set _Z9fwht_cudaILi64EEvPKfPflf.has_indirect_call, 0
	.section	.AMDGPU.csdata,"",@progbits
; Kernel info:
; codeLenInByte = 612
; TotalNumSgprs: 9
; NumVgprs: 11
; ScratchSize: 0
; MemoryBound: 0
; FloatMode: 240
; IeeeMode: 1
; LDSByteSize: 0 bytes/workgroup (compile time only)
; SGPRBlocks: 0
; VGPRBlocks: 1
; NumSGPRsForWavesPerEU: 9
; NumVGPRsForWavesPerEU: 11
; Occupancy: 16
; WaveLimiterHint : 1
; COMPUTE_PGM_RSRC2:SCRATCH_EN: 0
; COMPUTE_PGM_RSRC2:USER_SGPR: 6
; COMPUTE_PGM_RSRC2:TRAP_HANDLER: 0
; COMPUTE_PGM_RSRC2:TGID_X_EN: 1
; COMPUTE_PGM_RSRC2:TGID_Y_EN: 0
; COMPUTE_PGM_RSRC2:TGID_Z_EN: 0
; COMPUTE_PGM_RSRC2:TIDIG_COMP_CNT: 1
	.section	.text._Z9fwht_cudaILi128EEvPKfPflf,"axG",@progbits,_Z9fwht_cudaILi128EEvPKfPflf,comdat
	.protected	_Z9fwht_cudaILi128EEvPKfPflf ; -- Begin function _Z9fwht_cudaILi128EEvPKfPflf
	.globl	_Z9fwht_cudaILi128EEvPKfPflf
	.p2align	8
	.type	_Z9fwht_cudaILi128EEvPKfPflf,@function
_Z9fwht_cudaILi128EEvPKfPflf:           ; @_Z9fwht_cudaILi128EEvPKfPflf
; %bb.0:
	s_clause 0x1
	s_load_dword s2, s[4:5], 0x2c
	s_load_dwordx2 s[0:1], s[4:5], 0x10
	v_mov_b32_e32 v2, 0
	s_waitcnt lgkmcnt(0)
	s_lshr_b32 s2, s2, 16
	v_mad_u64_u32 v[1:2], null, s2, s6, v[1:2]
	v_cmp_gt_i64_e32 vcc_lo, s[0:1], v[1:2]
	s_and_saveexec_b32 s0, vcc_lo
	s_cbranch_execz .LBB1_2
; %bb.1:
	s_load_dwordx4 s[0:3], s[4:5], 0x0
	v_lshlrev_b64 v[1:2], 9, v[1:2]
	v_lshlrev_b32_e32 v5, 2, v0
	s_load_dword s4, s[4:5], 0x18
	v_and_b32_e32 v13, 1, v0
	s_waitcnt lgkmcnt(0)
	v_add_co_u32 v3, vcc_lo, s0, v1
	v_add_co_ci_u32_e64 v4, null, s1, v2, vcc_lo
	v_add_co_u32 v3, vcc_lo, v3, v5
	v_add_co_ci_u32_e64 v4, null, 0, v4, vcc_lo
	s_clause 0x3
	global_load_dword v6, v[3:4], off
	global_load_dword v7, v[3:4], off offset:128
	global_load_dword v8, v[3:4], off offset:256
	;; [unrolled: 1-line block ×3, first 2 shown]
	v_mbcnt_lo_u32_b32 v4, -1, 0
	v_xor_b32_e32 v9, 1, v4
	v_xor_b32_e32 v14, 2, v4
	v_cmp_gt_i32_e32 vcc_lo, 32, v9
	v_cmp_gt_i32_e64 s0, 32, v14
	v_cndmask_b32_e32 v9, v4, v9, vcc_lo
	v_cmp_eq_u32_e32 vcc_lo, 0, v13
	v_cndmask_b32_e64 v13, v4, v14, s0
	v_xor_b32_e32 v14, 4, v4
	v_lshlrev_b32_e32 v9, 2, v9
	v_lshlrev_b32_e32 v13, 2, v13
	v_cmp_gt_i32_e64 s0, 32, v14
	s_waitcnt vmcnt(3)
	v_mul_f32_e32 v6, s4, v6
	s_waitcnt vmcnt(2)
	v_mul_f32_e32 v7, s4, v7
	;; [unrolled: 2-line block ×4, first 2 shown]
	ds_bpermute_b32 v10, v9, v6
	ds_bpermute_b32 v11, v9, v7
	;; [unrolled: 1-line block ×4, first 2 shown]
	v_cndmask_b32_e64 v6, -v6, v6, vcc_lo
	v_cndmask_b32_e64 v7, -v7, v7, vcc_lo
	v_cndmask_b32_e64 v8, -v8, v8, vcc_lo
	v_cndmask_b32_e64 v3, -v3, v3, vcc_lo
	s_waitcnt lgkmcnt(3)
	v_add_f32_e32 v6, v6, v10
	s_waitcnt lgkmcnt(2)
	v_add_f32_e32 v7, v7, v11
	;; [unrolled: 2-line block ×4, first 2 shown]
	ds_bpermute_b32 v9, v13, v6
	ds_bpermute_b32 v10, v13, v7
	;; [unrolled: 1-line block ×4, first 2 shown]
	v_and_b32_e32 v13, 2, v0
	v_cmp_eq_u32_e32 vcc_lo, 0, v13
	v_cndmask_b32_e64 v13, v4, v14, s0
	v_xor_b32_e32 v14, 8, v4
	v_cndmask_b32_e64 v6, -v6, v6, vcc_lo
	v_cndmask_b32_e64 v7, -v7, v7, vcc_lo
	;; [unrolled: 1-line block ×4, first 2 shown]
	v_lshlrev_b32_e32 v13, 2, v13
	v_cmp_gt_i32_e64 s0, 32, v14
	s_waitcnt lgkmcnt(3)
	v_add_f32_e32 v6, v6, v9
	s_waitcnt lgkmcnt(2)
	v_add_f32_e32 v7, v7, v10
	;; [unrolled: 2-line block ×4, first 2 shown]
	ds_bpermute_b32 v9, v13, v6
	ds_bpermute_b32 v10, v13, v7
	;; [unrolled: 1-line block ×4, first 2 shown]
	v_and_b32_e32 v13, 4, v0
	v_cmp_eq_u32_e32 vcc_lo, 0, v13
	v_cndmask_b32_e64 v13, v4, v14, s0
	v_xor_b32_e32 v14, 16, v4
	v_cndmask_b32_e64 v6, -v6, v6, vcc_lo
	v_cndmask_b32_e64 v7, -v7, v7, vcc_lo
	v_cndmask_b32_e64 v8, -v8, v8, vcc_lo
	v_cndmask_b32_e64 v3, -v3, v3, vcc_lo
	v_lshlrev_b32_e32 v13, 2, v13
	v_cmp_gt_i32_e64 s0, 32, v14
	s_waitcnt lgkmcnt(3)
	v_add_f32_e32 v6, v6, v9
	s_waitcnt lgkmcnt(2)
	v_add_f32_e32 v7, v7, v10
	;; [unrolled: 2-line block ×4, first 2 shown]
	v_cndmask_b32_e64 v4, v4, v14, s0
	ds_bpermute_b32 v9, v13, v6
	ds_bpermute_b32 v10, v13, v7
	;; [unrolled: 1-line block ×4, first 2 shown]
	v_and_b32_e32 v13, 8, v0
	v_lshlrev_b32_e32 v4, 2, v4
	v_and_b32_e32 v0, 16, v0
	v_cmp_eq_u32_e32 vcc_lo, 0, v13
	v_cndmask_b32_e64 v6, -v6, v6, vcc_lo
	v_cndmask_b32_e64 v7, -v7, v7, vcc_lo
	;; [unrolled: 1-line block ×4, first 2 shown]
	v_cmp_eq_u32_e32 vcc_lo, 0, v0
	s_waitcnt lgkmcnt(3)
	v_add_f32_e32 v6, v6, v9
	s_waitcnt lgkmcnt(2)
	v_add_f32_e32 v7, v7, v10
	s_waitcnt lgkmcnt(1)
	v_add_f32_e32 v8, v8, v11
	s_waitcnt lgkmcnt(0)
	v_add_f32_e32 v3, v3, v12
	ds_bpermute_b32 v9, v4, v6
	ds_bpermute_b32 v10, v4, v7
	;; [unrolled: 1-line block ×4, first 2 shown]
	v_cndmask_b32_e64 v0, -v6, v6, vcc_lo
	v_cndmask_b32_e64 v6, -v7, v7, vcc_lo
	v_cndmask_b32_e64 v7, -v8, v8, vcc_lo
	v_cndmask_b32_e64 v3, -v3, v3, vcc_lo
	v_add_co_u32 v1, vcc_lo, s2, v1
	v_add_co_ci_u32_e64 v2, null, s3, v2, vcc_lo
	s_waitcnt lgkmcnt(3)
	v_add_f32_e32 v0, v0, v9
	s_waitcnt lgkmcnt(2)
	v_add_f32_e32 v6, v6, v10
	;; [unrolled: 2-line block ×4, first 2 shown]
	v_add_f32_e32 v4, v0, v6
	v_sub_f32_e32 v6, v0, v6
	v_add_f32_e32 v8, v7, v3
	v_sub_f32_e32 v3, v7, v3
	v_add_co_u32 v0, vcc_lo, v1, v5
	v_add_co_ci_u32_e64 v1, null, 0, v2, vcc_lo
	v_add_f32_e32 v2, v4, v8
	v_add_f32_e32 v5, v6, v3
	v_sub_f32_e32 v4, v4, v8
	v_sub_f32_e32 v3, v6, v3
	global_store_dword v[0:1], v2, off
	global_store_dword v[0:1], v5, off offset:128
	global_store_dword v[0:1], v4, off offset:256
	;; [unrolled: 1-line block ×3, first 2 shown]
.LBB1_2:
	s_endpgm
	.section	.rodata,"a",@progbits
	.p2align	6, 0x0
	.amdhsa_kernel _Z9fwht_cudaILi128EEvPKfPflf
		.amdhsa_group_segment_fixed_size 0
		.amdhsa_private_segment_fixed_size 0
		.amdhsa_kernarg_size 288
		.amdhsa_user_sgpr_count 6
		.amdhsa_user_sgpr_private_segment_buffer 1
		.amdhsa_user_sgpr_dispatch_ptr 0
		.amdhsa_user_sgpr_queue_ptr 0
		.amdhsa_user_sgpr_kernarg_segment_ptr 1
		.amdhsa_user_sgpr_dispatch_id 0
		.amdhsa_user_sgpr_flat_scratch_init 0
		.amdhsa_user_sgpr_private_segment_size 0
		.amdhsa_wavefront_size32 1
		.amdhsa_uses_dynamic_stack 0
		.amdhsa_system_sgpr_private_segment_wavefront_offset 0
		.amdhsa_system_sgpr_workgroup_id_x 1
		.amdhsa_system_sgpr_workgroup_id_y 0
		.amdhsa_system_sgpr_workgroup_id_z 0
		.amdhsa_system_sgpr_workgroup_info 0
		.amdhsa_system_vgpr_workitem_id 1
		.amdhsa_next_free_vgpr 15
		.amdhsa_next_free_sgpr 7
		.amdhsa_reserve_vcc 1
		.amdhsa_reserve_flat_scratch 0
		.amdhsa_float_round_mode_32 0
		.amdhsa_float_round_mode_16_64 0
		.amdhsa_float_denorm_mode_32 3
		.amdhsa_float_denorm_mode_16_64 3
		.amdhsa_dx10_clamp 1
		.amdhsa_ieee_mode 1
		.amdhsa_fp16_overflow 0
		.amdhsa_workgroup_processor_mode 1
		.amdhsa_memory_ordered 1
		.amdhsa_forward_progress 1
		.amdhsa_shared_vgpr_count 0
		.amdhsa_exception_fp_ieee_invalid_op 0
		.amdhsa_exception_fp_denorm_src 0
		.amdhsa_exception_fp_ieee_div_zero 0
		.amdhsa_exception_fp_ieee_overflow 0
		.amdhsa_exception_fp_ieee_underflow 0
		.amdhsa_exception_fp_ieee_inexact 0
		.amdhsa_exception_int_div_zero 0
	.end_amdhsa_kernel
	.section	.text._Z9fwht_cudaILi128EEvPKfPflf,"axG",@progbits,_Z9fwht_cudaILi128EEvPKfPflf,comdat
.Lfunc_end1:
	.size	_Z9fwht_cudaILi128EEvPKfPflf, .Lfunc_end1-_Z9fwht_cudaILi128EEvPKfPflf
                                        ; -- End function
	.set _Z9fwht_cudaILi128EEvPKfPflf.num_vgpr, 15
	.set _Z9fwht_cudaILi128EEvPKfPflf.num_agpr, 0
	.set _Z9fwht_cudaILi128EEvPKfPflf.numbered_sgpr, 7
	.set _Z9fwht_cudaILi128EEvPKfPflf.num_named_barrier, 0
	.set _Z9fwht_cudaILi128EEvPKfPflf.private_seg_size, 0
	.set _Z9fwht_cudaILi128EEvPKfPflf.uses_vcc, 1
	.set _Z9fwht_cudaILi128EEvPKfPflf.uses_flat_scratch, 0
	.set _Z9fwht_cudaILi128EEvPKfPflf.has_dyn_sized_stack, 0
	.set _Z9fwht_cudaILi128EEvPKfPflf.has_recursion, 0
	.set _Z9fwht_cudaILi128EEvPKfPflf.has_indirect_call, 0
	.section	.AMDGPU.csdata,"",@progbits
; Kernel info:
; codeLenInByte = 924
; TotalNumSgprs: 9
; NumVgprs: 15
; ScratchSize: 0
; MemoryBound: 0
; FloatMode: 240
; IeeeMode: 1
; LDSByteSize: 0 bytes/workgroup (compile time only)
; SGPRBlocks: 0
; VGPRBlocks: 1
; NumSGPRsForWavesPerEU: 9
; NumVGPRsForWavesPerEU: 15
; Occupancy: 16
; WaveLimiterHint : 1
; COMPUTE_PGM_RSRC2:SCRATCH_EN: 0
; COMPUTE_PGM_RSRC2:USER_SGPR: 6
; COMPUTE_PGM_RSRC2:TRAP_HANDLER: 0
; COMPUTE_PGM_RSRC2:TGID_X_EN: 1
; COMPUTE_PGM_RSRC2:TGID_Y_EN: 0
; COMPUTE_PGM_RSRC2:TGID_Z_EN: 0
; COMPUTE_PGM_RSRC2:TIDIG_COMP_CNT: 1
	.section	.text._Z9fwht_cudaILi256EEvPKfPflf,"axG",@progbits,_Z9fwht_cudaILi256EEvPKfPflf,comdat
	.protected	_Z9fwht_cudaILi256EEvPKfPflf ; -- Begin function _Z9fwht_cudaILi256EEvPKfPflf
	.globl	_Z9fwht_cudaILi256EEvPKfPflf
	.p2align	8
	.type	_Z9fwht_cudaILi256EEvPKfPflf,@function
_Z9fwht_cudaILi256EEvPKfPflf:           ; @_Z9fwht_cudaILi256EEvPKfPflf
; %bb.0:
	s_clause 0x1
	s_load_dword s2, s[4:5], 0x2c
	s_load_dwordx2 s[0:1], s[4:5], 0x10
	v_mov_b32_e32 v2, 0
	s_waitcnt lgkmcnt(0)
	s_lshr_b32 s2, s2, 16
	v_mad_u64_u32 v[1:2], null, s2, s6, v[1:2]
	v_cmp_gt_i64_e32 vcc_lo, s[0:1], v[1:2]
	s_and_saveexec_b32 s0, vcc_lo
	s_cbranch_execz .LBB2_2
; %bb.1:
	s_load_dwordx4 s[0:3], s[4:5], 0x0
	v_lshlrev_b64 v[1:2], 10, v[1:2]
	v_lshlrev_b32_e32 v5, 2, v0
	s_load_dword s4, s[4:5], 0x18
	v_and_b32_e32 v13, 1, v0
	v_and_b32_e32 v14, 2, v0
	;; [unrolled: 1-line block ×5, first 2 shown]
	s_waitcnt lgkmcnt(0)
	v_add_co_u32 v3, vcc_lo, s0, v1
	v_add_co_ci_u32_e64 v4, null, s1, v2, vcc_lo
	v_add_co_u32 v3, vcc_lo, v3, v5
	v_add_co_ci_u32_e64 v4, null, 0, v4, vcc_lo
	s_clause 0x7
	global_load_dword v6, v[3:4], off
	global_load_dword v7, v[3:4], off offset:128
	global_load_dword v8, v[3:4], off offset:256
	;; [unrolled: 1-line block ×7, first 2 shown]
	v_mbcnt_lo_u32_b32 v4, -1, 0
	v_xor_b32_e32 v17, 1, v4
	v_xor_b32_e32 v18, 2, v4
	;; [unrolled: 1-line block ×5, first 2 shown]
	v_cmp_gt_i32_e32 vcc_lo, 32, v17
	v_cmp_gt_i32_e64 s0, 32, v20
	v_cndmask_b32_e32 v17, v4, v17, vcc_lo
	v_cmp_gt_i32_e32 vcc_lo, 32, v18
	v_lshlrev_b32_e32 v17, 2, v17
	v_cndmask_b32_e32 v18, v4, v18, vcc_lo
	v_cmp_gt_i32_e32 vcc_lo, 32, v19
	v_lshlrev_b32_e32 v18, 2, v18
	v_cndmask_b32_e32 v19, v4, v19, vcc_lo
	v_cmp_eq_u32_e32 vcc_lo, 0, v13
	v_cndmask_b32_e64 v13, v4, v20, s0
	v_cmp_gt_i32_e64 s0, 32, v21
	v_lshlrev_b32_e32 v13, 2, v13
	v_cndmask_b32_e64 v4, v4, v21, s0
	v_add_co_u32 v1, s0, s2, v1
	v_add_co_ci_u32_e64 v2, null, s3, v2, s0
	v_lshlrev_b32_e32 v4, 2, v4
	s_waitcnt vmcnt(7)
	v_mul_f32_e32 v6, s4, v6
	s_waitcnt vmcnt(6)
	v_mul_f32_e32 v7, s4, v7
	;; [unrolled: 2-line block ×8, first 2 shown]
	ds_bpermute_b32 v22, v17, v6
	ds_bpermute_b32 v23, v17, v7
	;; [unrolled: 1-line block ×8, first 2 shown]
	v_cndmask_b32_e64 v6, -v6, v6, vcc_lo
	v_cndmask_b32_e64 v7, -v7, v7, vcc_lo
	;; [unrolled: 1-line block ×8, first 2 shown]
	v_cmp_eq_u32_e32 vcc_lo, 0, v14
	v_lshlrev_b32_e32 v14, 2, v19
	s_waitcnt lgkmcnt(7)
	v_add_f32_e32 v6, v6, v22
	s_waitcnt lgkmcnt(6)
	v_add_f32_e32 v7, v7, v23
	s_waitcnt lgkmcnt(5)
	v_add_f32_e32 v8, v8, v24
	s_waitcnt lgkmcnt(4)
	v_add_f32_e32 v9, v9, v25
	s_waitcnt lgkmcnt(3)
	v_add_f32_e32 v10, v10, v26
	s_waitcnt lgkmcnt(2)
	v_add_f32_e32 v11, v11, v27
	s_waitcnt lgkmcnt(1)
	v_add_f32_e32 v12, v12, v28
	s_waitcnt lgkmcnt(0)
	v_add_f32_e32 v3, v3, v17
	ds_bpermute_b32 v17, v18, v6
	ds_bpermute_b32 v20, v18, v7
	ds_bpermute_b32 v22, v18, v8
	ds_bpermute_b32 v23, v18, v9
	ds_bpermute_b32 v24, v18, v10
	ds_bpermute_b32 v25, v18, v11
	ds_bpermute_b32 v26, v18, v12
	ds_bpermute_b32 v18, v18, v3
	v_cndmask_b32_e64 v6, -v6, v6, vcc_lo
	v_cndmask_b32_e64 v7, -v7, v7, vcc_lo
	v_cndmask_b32_e64 v8, -v8, v8, vcc_lo
	v_cndmask_b32_e64 v9, -v9, v9, vcc_lo
	v_cndmask_b32_e64 v10, -v10, v10, vcc_lo
	v_cndmask_b32_e64 v11, -v11, v11, vcc_lo
	v_cndmask_b32_e64 v12, -v12, v12, vcc_lo
	v_cndmask_b32_e64 v3, -v3, v3, vcc_lo
	v_cmp_eq_u32_e32 vcc_lo, 0, v15
	s_waitcnt lgkmcnt(7)
	v_add_f32_e32 v6, v6, v17
	s_waitcnt lgkmcnt(6)
	v_add_f32_e32 v7, v7, v20
	s_waitcnt lgkmcnt(5)
	v_add_f32_e32 v8, v8, v22
	s_waitcnt lgkmcnt(4)
	v_add_f32_e32 v9, v9, v23
	s_waitcnt lgkmcnt(3)
	v_add_f32_e32 v10, v10, v24
	s_waitcnt lgkmcnt(2)
	v_add_f32_e32 v11, v11, v25
	s_waitcnt lgkmcnt(1)
	v_add_f32_e32 v12, v12, v26
	s_waitcnt lgkmcnt(0)
	v_add_f32_e32 v3, v3, v18
	ds_bpermute_b32 v17, v14, v6
	ds_bpermute_b32 v18, v14, v7
	ds_bpermute_b32 v19, v14, v8
	ds_bpermute_b32 v20, v14, v9
	ds_bpermute_b32 v21, v14, v10
	ds_bpermute_b32 v22, v14, v11
	ds_bpermute_b32 v23, v14, v12
	ds_bpermute_b32 v14, v14, v3
	v_cndmask_b32_e64 v6, -v6, v6, vcc_lo
	v_cndmask_b32_e64 v7, -v7, v7, vcc_lo
	v_cndmask_b32_e64 v8, -v8, v8, vcc_lo
	v_cndmask_b32_e64 v9, -v9, v9, vcc_lo
	v_cndmask_b32_e64 v10, -v10, v10, vcc_lo
	v_cndmask_b32_e64 v11, -v11, v11, vcc_lo
	v_cndmask_b32_e64 v12, -v12, v12, vcc_lo
	v_cndmask_b32_e64 v3, -v3, v3, vcc_lo
	v_cmp_eq_u32_e32 vcc_lo, 0, v16
	;; [unrolled: 33-line block ×3, first 2 shown]
	v_add_co_u32 v0, s0, v1, v5
	v_add_co_ci_u32_e64 v1, null, 0, v2, s0
	s_waitcnt lgkmcnt(7)
	v_add_f32_e32 v6, v6, v14
	s_waitcnt lgkmcnt(6)
	v_add_f32_e32 v7, v7, v15
	;; [unrolled: 2-line block ×8, first 2 shown]
	ds_bpermute_b32 v13, v4, v6
	ds_bpermute_b32 v14, v4, v7
	;; [unrolled: 1-line block ×8, first 2 shown]
	v_cndmask_b32_e64 v2, -v6, v6, vcc_lo
	v_cndmask_b32_e64 v5, -v7, v7, vcc_lo
	;; [unrolled: 1-line block ×8, first 2 shown]
	s_waitcnt lgkmcnt(7)
	v_add_f32_e32 v2, v2, v13
	s_waitcnt lgkmcnt(6)
	v_add_f32_e32 v5, v5, v14
	;; [unrolled: 2-line block ×8, first 2 shown]
	v_add_f32_e32 v4, v2, v5
	v_sub_f32_e32 v2, v2, v5
	v_add_f32_e32 v5, v6, v7
	v_sub_f32_e32 v6, v6, v7
	;; [unrolled: 2-line block ×4, first 2 shown]
	v_sub_f32_e32 v10, v4, v5
	v_add_f32_e32 v4, v4, v5
	v_add_f32_e32 v5, v2, v6
	v_sub_f32_e32 v11, v7, v9
	v_add_f32_e32 v7, v7, v9
	v_add_f32_e32 v9, v8, v3
	v_sub_f32_e32 v2, v2, v6
	v_sub_f32_e32 v3, v8, v3
	;; [unrolled: 1-line block ×3, first 2 shown]
	v_add_f32_e32 v8, v4, v7
	v_add_f32_e32 v12, v5, v9
	;; [unrolled: 1-line block ×3, first 2 shown]
	v_sub_f32_e32 v4, v4, v7
	v_add_f32_e32 v7, v2, v3
	v_sub_f32_e32 v5, v5, v9
	v_sub_f32_e32 v2, v2, v3
	global_store_dword v[0:1], v8, off
	global_store_dword v[0:1], v12, off offset:128
	global_store_dword v[0:1], v10, off offset:256
	global_store_dword v[0:1], v7, off offset:384
	global_store_dword v[0:1], v4, off offset:512
	global_store_dword v[0:1], v5, off offset:640
	global_store_dword v[0:1], v6, off offset:768
	global_store_dword v[0:1], v2, off offset:896
.LBB2_2:
	s_endpgm
	.section	.rodata,"a",@progbits
	.p2align	6, 0x0
	.amdhsa_kernel _Z9fwht_cudaILi256EEvPKfPflf
		.amdhsa_group_segment_fixed_size 0
		.amdhsa_private_segment_fixed_size 0
		.amdhsa_kernarg_size 288
		.amdhsa_user_sgpr_count 6
		.amdhsa_user_sgpr_private_segment_buffer 1
		.amdhsa_user_sgpr_dispatch_ptr 0
		.amdhsa_user_sgpr_queue_ptr 0
		.amdhsa_user_sgpr_kernarg_segment_ptr 1
		.amdhsa_user_sgpr_dispatch_id 0
		.amdhsa_user_sgpr_flat_scratch_init 0
		.amdhsa_user_sgpr_private_segment_size 0
		.amdhsa_wavefront_size32 1
		.amdhsa_uses_dynamic_stack 0
		.amdhsa_system_sgpr_private_segment_wavefront_offset 0
		.amdhsa_system_sgpr_workgroup_id_x 1
		.amdhsa_system_sgpr_workgroup_id_y 0
		.amdhsa_system_sgpr_workgroup_id_z 0
		.amdhsa_system_sgpr_workgroup_info 0
		.amdhsa_system_vgpr_workitem_id 1
		.amdhsa_next_free_vgpr 29
		.amdhsa_next_free_sgpr 7
		.amdhsa_reserve_vcc 1
		.amdhsa_reserve_flat_scratch 0
		.amdhsa_float_round_mode_32 0
		.amdhsa_float_round_mode_16_64 0
		.amdhsa_float_denorm_mode_32 3
		.amdhsa_float_denorm_mode_16_64 3
		.amdhsa_dx10_clamp 1
		.amdhsa_ieee_mode 1
		.amdhsa_fp16_overflow 0
		.amdhsa_workgroup_processor_mode 1
		.amdhsa_memory_ordered 1
		.amdhsa_forward_progress 1
		.amdhsa_shared_vgpr_count 0
		.amdhsa_exception_fp_ieee_invalid_op 0
		.amdhsa_exception_fp_denorm_src 0
		.amdhsa_exception_fp_ieee_div_zero 0
		.amdhsa_exception_fp_ieee_overflow 0
		.amdhsa_exception_fp_ieee_underflow 0
		.amdhsa_exception_fp_ieee_inexact 0
		.amdhsa_exception_int_div_zero 0
	.end_amdhsa_kernel
	.section	.text._Z9fwht_cudaILi256EEvPKfPflf,"axG",@progbits,_Z9fwht_cudaILi256EEvPKfPflf,comdat
.Lfunc_end2:
	.size	_Z9fwht_cudaILi256EEvPKfPflf, .Lfunc_end2-_Z9fwht_cudaILi256EEvPKfPflf
                                        ; -- End function
	.set _Z9fwht_cudaILi256EEvPKfPflf.num_vgpr, 29
	.set _Z9fwht_cudaILi256EEvPKfPflf.num_agpr, 0
	.set _Z9fwht_cudaILi256EEvPKfPflf.numbered_sgpr, 7
	.set _Z9fwht_cudaILi256EEvPKfPflf.num_named_barrier, 0
	.set _Z9fwht_cudaILi256EEvPKfPflf.private_seg_size, 0
	.set _Z9fwht_cudaILi256EEvPKfPflf.uses_vcc, 1
	.set _Z9fwht_cudaILi256EEvPKfPflf.uses_flat_scratch, 0
	.set _Z9fwht_cudaILi256EEvPKfPflf.has_dyn_sized_stack, 0
	.set _Z9fwht_cudaILi256EEvPKfPflf.has_recursion, 0
	.set _Z9fwht_cudaILi256EEvPKfPflf.has_indirect_call, 0
	.section	.AMDGPU.csdata,"",@progbits
; Kernel info:
; codeLenInByte = 1548
; TotalNumSgprs: 9
; NumVgprs: 29
; ScratchSize: 0
; MemoryBound: 0
; FloatMode: 240
; IeeeMode: 1
; LDSByteSize: 0 bytes/workgroup (compile time only)
; SGPRBlocks: 0
; VGPRBlocks: 3
; NumSGPRsForWavesPerEU: 9
; NumVGPRsForWavesPerEU: 29
; Occupancy: 16
; WaveLimiterHint : 1
; COMPUTE_PGM_RSRC2:SCRATCH_EN: 0
; COMPUTE_PGM_RSRC2:USER_SGPR: 6
; COMPUTE_PGM_RSRC2:TRAP_HANDLER: 0
; COMPUTE_PGM_RSRC2:TGID_X_EN: 1
; COMPUTE_PGM_RSRC2:TGID_Y_EN: 0
; COMPUTE_PGM_RSRC2:TGID_Z_EN: 0
; COMPUTE_PGM_RSRC2:TIDIG_COMP_CNT: 1
	.section	.text._Z9fwht_cudaILi512EEvPKfPflf,"axG",@progbits,_Z9fwht_cudaILi512EEvPKfPflf,comdat
	.protected	_Z9fwht_cudaILi512EEvPKfPflf ; -- Begin function _Z9fwht_cudaILi512EEvPKfPflf
	.globl	_Z9fwht_cudaILi512EEvPKfPflf
	.p2align	8
	.type	_Z9fwht_cudaILi512EEvPKfPflf,@function
_Z9fwht_cudaILi512EEvPKfPflf:           ; @_Z9fwht_cudaILi512EEvPKfPflf
; %bb.0:
	s_clause 0x1
	s_load_dword s2, s[4:5], 0x2c
	s_load_dwordx2 s[0:1], s[4:5], 0x10
	v_mov_b32_e32 v2, 0
	s_waitcnt lgkmcnt(0)
	s_lshr_b32 s2, s2, 16
	v_mad_u64_u32 v[1:2], null, s2, s6, v[1:2]
	v_cmp_gt_i64_e32 vcc_lo, s[0:1], v[1:2]
	s_and_saveexec_b32 s0, vcc_lo
	s_cbranch_execz .LBB3_2
; %bb.1:
	s_load_dwordx4 s[0:3], s[4:5], 0x0
	v_lshlrev_b64 v[1:2], 11, v[1:2]
	v_lshlrev_b32_e32 v5, 2, v0
	v_and_b32_e32 v21, 1, v0
	v_and_b32_e32 v22, 2, v0
	;; [unrolled: 1-line block ×5, first 2 shown]
	s_load_dword s4, s[4:5], 0x18
	s_waitcnt lgkmcnt(0)
	v_add_co_u32 v3, vcc_lo, s0, v1
	v_add_co_ci_u32_e64 v4, null, s1, v2, vcc_lo
	v_add_co_u32 v3, vcc_lo, v3, v5
	v_add_co_ci_u32_e64 v4, null, 0, v4, vcc_lo
	s_clause 0xf
	global_load_dword v6, v[3:4], off
	global_load_dword v7, v[3:4], off offset:128
	global_load_dword v8, v[3:4], off offset:256
	;; [unrolled: 1-line block ×15, first 2 shown]
	v_mbcnt_lo_u32_b32 v4, -1, 0
	v_xor_b32_e32 v0, 1, v4
	v_xor_b32_e32 v26, 2, v4
	;; [unrolled: 1-line block ×5, first 2 shown]
	v_cmp_gt_i32_e32 vcc_lo, 32, v0
	v_cndmask_b32_e32 v0, v4, v0, vcc_lo
	v_cmp_gt_i32_e32 vcc_lo, 32, v26
	v_cndmask_b32_e32 v26, v4, v26, vcc_lo
	v_cmp_gt_i32_e32 vcc_lo, 32, v27
	v_lshlrev_b32_e32 v26, 2, v26
	v_cndmask_b32_e32 v27, v4, v27, vcc_lo
	v_cmp_gt_i32_e32 vcc_lo, 32, v28
	v_lshlrev_b32_e32 v27, 2, v27
	;; [unrolled: 3-line block ×3, first 2 shown]
	v_cndmask_b32_e32 v4, v4, v29, vcc_lo
	v_lshlrev_b32_e32 v29, 2, v0
	v_add_co_u32 v0, vcc_lo, s2, v1
	v_add_co_ci_u32_e64 v1, null, s3, v2, vcc_lo
	v_lshlrev_b32_e32 v2, 2, v4
	v_add_co_u32 v0, vcc_lo, v0, v5
	v_add_co_ci_u32_e64 v1, null, 0, v1, vcc_lo
	v_cmp_eq_u32_e32 vcc_lo, 0, v21
	s_waitcnt vmcnt(15)
	v_mul_f32_e32 v4, s4, v6
	s_waitcnt vmcnt(14)
	v_mul_f32_e32 v5, s4, v7
	s_waitcnt vmcnt(13)
	v_mul_f32_e32 v6, s4, v8
	s_waitcnt vmcnt(12)
	v_mul_f32_e32 v7, s4, v9
	s_waitcnt vmcnt(11)
	v_mul_f32_e32 v8, s4, v10
	s_waitcnt vmcnt(10)
	v_mul_f32_e32 v9, s4, v11
	s_waitcnt vmcnt(9)
	v_mul_f32_e32 v10, s4, v12
	s_waitcnt vmcnt(8)
	v_mul_f32_e32 v11, s4, v13
	s_waitcnt vmcnt(7)
	v_mul_f32_e32 v12, s4, v14
	s_waitcnt vmcnt(6)
	v_mul_f32_e32 v13, s4, v15
	s_waitcnt vmcnt(5)
	v_mul_f32_e32 v14, s4, v16
	s_waitcnt vmcnt(4)
	v_mul_f32_e32 v15, s4, v17
	s_waitcnt vmcnt(3)
	v_mul_f32_e32 v16, s4, v18
	s_waitcnt vmcnt(2)
	v_mul_f32_e32 v17, s4, v19
	s_waitcnt vmcnt(1)
	v_mul_f32_e32 v18, s4, v20
	s_waitcnt vmcnt(0)
	v_mul_f32_e32 v3, s4, v3
	ds_bpermute_b32 v19, v29, v4
	ds_bpermute_b32 v20, v29, v5
	;; [unrolled: 1-line block ×16, first 2 shown]
	v_cndmask_b32_e64 v4, -v4, v4, vcc_lo
	v_cndmask_b32_e64 v5, -v5, v5, vcc_lo
	;; [unrolled: 1-line block ×16, first 2 shown]
	s_waitcnt lgkmcnt(15)
	v_add_f32_e32 v4, v4, v19
	s_waitcnt lgkmcnt(14)
	v_add_f32_e32 v5, v5, v20
	;; [unrolled: 2-line block ×16, first 2 shown]
	v_cmp_eq_u32_e32 vcc_lo, 0, v22
	ds_bpermute_b32 v19, v26, v4
	ds_bpermute_b32 v20, v26, v5
	;; [unrolled: 1-line block ×16, first 2 shown]
	v_cndmask_b32_e64 v4, -v4, v4, vcc_lo
	v_cndmask_b32_e64 v5, -v5, v5, vcc_lo
	;; [unrolled: 1-line block ×16, first 2 shown]
	s_waitcnt lgkmcnt(15)
	v_add_f32_e32 v4, v4, v19
	s_waitcnt lgkmcnt(14)
	v_add_f32_e32 v5, v5, v20
	;; [unrolled: 2-line block ×16, first 2 shown]
	v_cmp_eq_u32_e32 vcc_lo, 0, v23
	ds_bpermute_b32 v19, v27, v4
	ds_bpermute_b32 v20, v27, v5
	;; [unrolled: 1-line block ×16, first 2 shown]
	v_cndmask_b32_e64 v4, -v4, v4, vcc_lo
	v_cndmask_b32_e64 v5, -v5, v5, vcc_lo
	;; [unrolled: 1-line block ×16, first 2 shown]
	s_waitcnt lgkmcnt(15)
	v_add_f32_e32 v4, v4, v19
	s_waitcnt lgkmcnt(14)
	v_add_f32_e32 v5, v5, v20
	;; [unrolled: 2-line block ×16, first 2 shown]
	v_cmp_eq_u32_e32 vcc_lo, 0, v24
	ds_bpermute_b32 v19, v28, v4
	ds_bpermute_b32 v20, v28, v5
	;; [unrolled: 1-line block ×16, first 2 shown]
	v_cndmask_b32_e64 v4, -v4, v4, vcc_lo
	v_cndmask_b32_e64 v5, -v5, v5, vcc_lo
	;; [unrolled: 1-line block ×16, first 2 shown]
	s_waitcnt lgkmcnt(15)
	v_add_f32_e32 v4, v4, v19
	s_waitcnt lgkmcnt(14)
	v_add_f32_e32 v5, v5, v20
	;; [unrolled: 2-line block ×16, first 2 shown]
	v_cmp_eq_u32_e32 vcc_lo, 0, v25
	ds_bpermute_b32 v19, v2, v4
	ds_bpermute_b32 v20, v2, v5
	ds_bpermute_b32 v21, v2, v6
	ds_bpermute_b32 v22, v2, v7
	ds_bpermute_b32 v23, v2, v8
	ds_bpermute_b32 v24, v2, v9
	ds_bpermute_b32 v25, v2, v10
	ds_bpermute_b32 v26, v2, v11
	ds_bpermute_b32 v27, v2, v12
	ds_bpermute_b32 v28, v2, v13
	ds_bpermute_b32 v29, v2, v14
	ds_bpermute_b32 v30, v2, v15
	ds_bpermute_b32 v31, v2, v16
	ds_bpermute_b32 v32, v2, v17
	ds_bpermute_b32 v33, v2, v18
	ds_bpermute_b32 v2, v2, v3
	v_cndmask_b32_e64 v4, -v4, v4, vcc_lo
	v_cndmask_b32_e64 v5, -v5, v5, vcc_lo
	;; [unrolled: 1-line block ×16, first 2 shown]
	s_waitcnt lgkmcnt(15)
	v_add_f32_e32 v4, v4, v19
	s_waitcnt lgkmcnt(14)
	v_add_f32_e32 v5, v5, v20
	;; [unrolled: 2-line block ×16, first 2 shown]
	v_add_f32_e32 v3, v4, v5
	v_sub_f32_e32 v4, v4, v5
	v_add_f32_e32 v5, v6, v7
	v_sub_f32_e32 v6, v6, v7
	;; [unrolled: 2-line block ×8, first 2 shown]
	v_sub_f32_e32 v18, v3, v5
	v_add_f32_e32 v3, v3, v5
	v_add_f32_e32 v5, v4, v6
	v_sub_f32_e32 v4, v4, v6
	v_sub_f32_e32 v6, v7, v9
	v_add_f32_e32 v7, v7, v9
	v_add_f32_e32 v9, v8, v10
	v_sub_f32_e32 v8, v8, v10
	;; [unrolled: 4-line block ×4, first 2 shown]
	v_add_f32_e32 v19, v3, v7
	v_add_f32_e32 v20, v5, v9
	v_sub_f32_e32 v5, v5, v9
	v_add_f32_e32 v9, v11, v15
	v_sub_f32_e32 v16, v18, v6
	v_add_f32_e32 v6, v18, v6
	v_add_f32_e32 v18, v13, v17
	v_sub_f32_e32 v3, v3, v7
	v_add_f32_e32 v7, v4, v8
	v_sub_f32_e32 v4, v4, v8
	v_sub_f32_e32 v8, v10, v14
	v_add_f32_e32 v10, v10, v14
	v_add_f32_e32 v14, v12, v2
	v_sub_f32_e32 v11, v11, v15
	v_sub_f32_e32 v13, v13, v17
	;; [unrolled: 1-line block ×3, first 2 shown]
	v_add_f32_e32 v15, v19, v9
	v_add_f32_e32 v17, v20, v18
	v_add_f32_e32 v21, v6, v10
	v_add_f32_e32 v22, v7, v14
	v_add_f32_e32 v23, v3, v11
	v_sub_f32_e32 v12, v16, v8
	v_add_f32_e32 v24, v5, v13
	v_add_f32_e32 v8, v16, v8
	v_sub_f32_e32 v9, v19, v9
	v_sub_f32_e32 v16, v20, v18
	;; [unrolled: 1-line block ×6, first 2 shown]
	v_add_f32_e32 v10, v4, v2
	v_sub_f32_e32 v2, v4, v2
	global_store_dword v[0:1], v15, off
	global_store_dword v[0:1], v17, off offset:128
	global_store_dword v[0:1], v21, off offset:256
	;; [unrolled: 1-line block ×15, first 2 shown]
.LBB3_2:
	s_endpgm
	.section	.rodata,"a",@progbits
	.p2align	6, 0x0
	.amdhsa_kernel _Z9fwht_cudaILi512EEvPKfPflf
		.amdhsa_group_segment_fixed_size 0
		.amdhsa_private_segment_fixed_size 0
		.amdhsa_kernarg_size 288
		.amdhsa_user_sgpr_count 6
		.amdhsa_user_sgpr_private_segment_buffer 1
		.amdhsa_user_sgpr_dispatch_ptr 0
		.amdhsa_user_sgpr_queue_ptr 0
		.amdhsa_user_sgpr_kernarg_segment_ptr 1
		.amdhsa_user_sgpr_dispatch_id 0
		.amdhsa_user_sgpr_flat_scratch_init 0
		.amdhsa_user_sgpr_private_segment_size 0
		.amdhsa_wavefront_size32 1
		.amdhsa_uses_dynamic_stack 0
		.amdhsa_system_sgpr_private_segment_wavefront_offset 0
		.amdhsa_system_sgpr_workgroup_id_x 1
		.amdhsa_system_sgpr_workgroup_id_y 0
		.amdhsa_system_sgpr_workgroup_id_z 0
		.amdhsa_system_sgpr_workgroup_info 0
		.amdhsa_system_vgpr_workitem_id 1
		.amdhsa_next_free_vgpr 42
		.amdhsa_next_free_sgpr 7
		.amdhsa_reserve_vcc 1
		.amdhsa_reserve_flat_scratch 0
		.amdhsa_float_round_mode_32 0
		.amdhsa_float_round_mode_16_64 0
		.amdhsa_float_denorm_mode_32 3
		.amdhsa_float_denorm_mode_16_64 3
		.amdhsa_dx10_clamp 1
		.amdhsa_ieee_mode 1
		.amdhsa_fp16_overflow 0
		.amdhsa_workgroup_processor_mode 1
		.amdhsa_memory_ordered 1
		.amdhsa_forward_progress 1
		.amdhsa_shared_vgpr_count 0
		.amdhsa_exception_fp_ieee_invalid_op 0
		.amdhsa_exception_fp_denorm_src 0
		.amdhsa_exception_fp_ieee_div_zero 0
		.amdhsa_exception_fp_ieee_overflow 0
		.amdhsa_exception_fp_ieee_underflow 0
		.amdhsa_exception_fp_ieee_inexact 0
		.amdhsa_exception_int_div_zero 0
	.end_amdhsa_kernel
	.section	.text._Z9fwht_cudaILi512EEvPKfPflf,"axG",@progbits,_Z9fwht_cudaILi512EEvPKfPflf,comdat
.Lfunc_end3:
	.size	_Z9fwht_cudaILi512EEvPKfPflf, .Lfunc_end3-_Z9fwht_cudaILi512EEvPKfPflf
                                        ; -- End function
	.set _Z9fwht_cudaILi512EEvPKfPflf.num_vgpr, 42
	.set _Z9fwht_cudaILi512EEvPKfPflf.num_agpr, 0
	.set _Z9fwht_cudaILi512EEvPKfPflf.numbered_sgpr, 7
	.set _Z9fwht_cudaILi512EEvPKfPflf.num_named_barrier, 0
	.set _Z9fwht_cudaILi512EEvPKfPflf.private_seg_size, 0
	.set _Z9fwht_cudaILi512EEvPKfPflf.uses_vcc, 1
	.set _Z9fwht_cudaILi512EEvPKfPflf.uses_flat_scratch, 0
	.set _Z9fwht_cudaILi512EEvPKfPflf.has_dyn_sized_stack, 0
	.set _Z9fwht_cudaILi512EEvPKfPflf.has_recursion, 0
	.set _Z9fwht_cudaILi512EEvPKfPflf.has_indirect_call, 0
	.section	.AMDGPU.csdata,"",@progbits
; Kernel info:
; codeLenInByte = 2844
; TotalNumSgprs: 9
; NumVgprs: 42
; ScratchSize: 0
; MemoryBound: 0
; FloatMode: 240
; IeeeMode: 1
; LDSByteSize: 0 bytes/workgroup (compile time only)
; SGPRBlocks: 0
; VGPRBlocks: 5
; NumSGPRsForWavesPerEU: 9
; NumVGPRsForWavesPerEU: 42
; Occupancy: 16
; WaveLimiterHint : 1
; COMPUTE_PGM_RSRC2:SCRATCH_EN: 0
; COMPUTE_PGM_RSRC2:USER_SGPR: 6
; COMPUTE_PGM_RSRC2:TRAP_HANDLER: 0
; COMPUTE_PGM_RSRC2:TGID_X_EN: 1
; COMPUTE_PGM_RSRC2:TGID_Y_EN: 0
; COMPUTE_PGM_RSRC2:TGID_Z_EN: 0
; COMPUTE_PGM_RSRC2:TIDIG_COMP_CNT: 1
	.section	.AMDGPU.gpr_maximums,"",@progbits
	.set amdgpu.max_num_vgpr, 0
	.set amdgpu.max_num_agpr, 0
	.set amdgpu.max_num_sgpr, 0
	.section	.AMDGPU.csdata,"",@progbits
	.type	__hip_cuid_21038459e057b8a2,@object ; @__hip_cuid_21038459e057b8a2
	.section	.bss,"aw",@nobits
	.globl	__hip_cuid_21038459e057b8a2
__hip_cuid_21038459e057b8a2:
	.byte	0                               ; 0x0
	.size	__hip_cuid_21038459e057b8a2, 1

	.ident	"AMD clang version 22.0.0git (https://github.com/RadeonOpenCompute/llvm-project roc-7.2.4 26084 f58b06dce1f9c15707c5f808fd002e18c2accf7e)"
	.section	".note.GNU-stack","",@progbits
	.addrsig
	.addrsig_sym __hip_cuid_21038459e057b8a2
	.amdgpu_metadata
---
amdhsa.kernels:
  - .args:
      - .address_space:  global
        .offset:         0
        .size:           8
        .value_kind:     global_buffer
      - .address_space:  global
        .offset:         8
        .size:           8
        .value_kind:     global_buffer
      - .offset:         16
        .size:           8
        .value_kind:     by_value
      - .offset:         24
        .size:           4
        .value_kind:     by_value
      - .offset:         32
        .size:           4
        .value_kind:     hidden_block_count_x
      - .offset:         36
        .size:           4
        .value_kind:     hidden_block_count_y
      - .offset:         40
        .size:           4
        .value_kind:     hidden_block_count_z
      - .offset:         44
        .size:           2
        .value_kind:     hidden_group_size_x
      - .offset:         46
        .size:           2
        .value_kind:     hidden_group_size_y
      - .offset:         48
        .size:           2
        .value_kind:     hidden_group_size_z
      - .offset:         50
        .size:           2
        .value_kind:     hidden_remainder_x
      - .offset:         52
        .size:           2
        .value_kind:     hidden_remainder_y
      - .offset:         54
        .size:           2
        .value_kind:     hidden_remainder_z
      - .offset:         72
        .size:           8
        .value_kind:     hidden_global_offset_x
      - .offset:         80
        .size:           8
        .value_kind:     hidden_global_offset_y
      - .offset:         88
        .size:           8
        .value_kind:     hidden_global_offset_z
      - .offset:         96
        .size:           2
        .value_kind:     hidden_grid_dims
    .group_segment_fixed_size: 0
    .kernarg_segment_align: 8
    .kernarg_segment_size: 288
    .language:       OpenCL C
    .language_version:
      - 2
      - 0
    .max_flat_workgroup_size: 128
    .name:           _Z9fwht_cudaILi64EEvPKfPflf
    .private_segment_fixed_size: 0
    .sgpr_count:     9
    .sgpr_spill_count: 0
    .symbol:         _Z9fwht_cudaILi64EEvPKfPflf.kd
    .uniform_work_group_size: 1
    .uses_dynamic_stack: false
    .vgpr_count:     11
    .vgpr_spill_count: 0
    .wavefront_size: 32
    .workgroup_processor_mode: 1
  - .args:
      - .address_space:  global
        .offset:         0
        .size:           8
        .value_kind:     global_buffer
      - .address_space:  global
        .offset:         8
        .size:           8
        .value_kind:     global_buffer
      - .offset:         16
        .size:           8
        .value_kind:     by_value
      - .offset:         24
        .size:           4
        .value_kind:     by_value
      - .offset:         32
        .size:           4
        .value_kind:     hidden_block_count_x
      - .offset:         36
        .size:           4
        .value_kind:     hidden_block_count_y
      - .offset:         40
        .size:           4
        .value_kind:     hidden_block_count_z
      - .offset:         44
        .size:           2
        .value_kind:     hidden_group_size_x
      - .offset:         46
        .size:           2
        .value_kind:     hidden_group_size_y
      - .offset:         48
        .size:           2
        .value_kind:     hidden_group_size_z
      - .offset:         50
        .size:           2
        .value_kind:     hidden_remainder_x
      - .offset:         52
        .size:           2
        .value_kind:     hidden_remainder_y
      - .offset:         54
        .size:           2
        .value_kind:     hidden_remainder_z
      - .offset:         72
        .size:           8
        .value_kind:     hidden_global_offset_x
      - .offset:         80
        .size:           8
        .value_kind:     hidden_global_offset_y
      - .offset:         88
        .size:           8
        .value_kind:     hidden_global_offset_z
      - .offset:         96
        .size:           2
        .value_kind:     hidden_grid_dims
    .group_segment_fixed_size: 0
    .kernarg_segment_align: 8
    .kernarg_segment_size: 288
    .language:       OpenCL C
    .language_version:
      - 2
      - 0
    .max_flat_workgroup_size: 128
    .name:           _Z9fwht_cudaILi128EEvPKfPflf
    .private_segment_fixed_size: 0
    .sgpr_count:     9
    .sgpr_spill_count: 0
    .symbol:         _Z9fwht_cudaILi128EEvPKfPflf.kd
    .uniform_work_group_size: 1
    .uses_dynamic_stack: false
    .vgpr_count:     15
    .vgpr_spill_count: 0
    .wavefront_size: 32
    .workgroup_processor_mode: 1
  - .args:
      - .address_space:  global
        .offset:         0
        .size:           8
        .value_kind:     global_buffer
      - .address_space:  global
        .offset:         8
        .size:           8
        .value_kind:     global_buffer
      - .offset:         16
        .size:           8
        .value_kind:     by_value
      - .offset:         24
        .size:           4
        .value_kind:     by_value
      - .offset:         32
        .size:           4
        .value_kind:     hidden_block_count_x
      - .offset:         36
        .size:           4
        .value_kind:     hidden_block_count_y
      - .offset:         40
        .size:           4
        .value_kind:     hidden_block_count_z
      - .offset:         44
        .size:           2
        .value_kind:     hidden_group_size_x
      - .offset:         46
        .size:           2
        .value_kind:     hidden_group_size_y
      - .offset:         48
        .size:           2
        .value_kind:     hidden_group_size_z
      - .offset:         50
        .size:           2
        .value_kind:     hidden_remainder_x
      - .offset:         52
        .size:           2
        .value_kind:     hidden_remainder_y
      - .offset:         54
        .size:           2
        .value_kind:     hidden_remainder_z
      - .offset:         72
        .size:           8
        .value_kind:     hidden_global_offset_x
      - .offset:         80
        .size:           8
        .value_kind:     hidden_global_offset_y
      - .offset:         88
        .size:           8
        .value_kind:     hidden_global_offset_z
      - .offset:         96
        .size:           2
        .value_kind:     hidden_grid_dims
    .group_segment_fixed_size: 0
    .kernarg_segment_align: 8
    .kernarg_segment_size: 288
    .language:       OpenCL C
    .language_version:
      - 2
      - 0
    .max_flat_workgroup_size: 128
    .name:           _Z9fwht_cudaILi256EEvPKfPflf
    .private_segment_fixed_size: 0
    .sgpr_count:     9
    .sgpr_spill_count: 0
    .symbol:         _Z9fwht_cudaILi256EEvPKfPflf.kd
    .uniform_work_group_size: 1
    .uses_dynamic_stack: false
    .vgpr_count:     29
    .vgpr_spill_count: 0
    .wavefront_size: 32
    .workgroup_processor_mode: 1
  - .args:
      - .address_space:  global
        .offset:         0
        .size:           8
        .value_kind:     global_buffer
      - .address_space:  global
        .offset:         8
        .size:           8
        .value_kind:     global_buffer
      - .offset:         16
        .size:           8
        .value_kind:     by_value
      - .offset:         24
        .size:           4
        .value_kind:     by_value
      - .offset:         32
        .size:           4
        .value_kind:     hidden_block_count_x
      - .offset:         36
        .size:           4
        .value_kind:     hidden_block_count_y
      - .offset:         40
        .size:           4
        .value_kind:     hidden_block_count_z
      - .offset:         44
        .size:           2
        .value_kind:     hidden_group_size_x
      - .offset:         46
        .size:           2
        .value_kind:     hidden_group_size_y
      - .offset:         48
        .size:           2
        .value_kind:     hidden_group_size_z
      - .offset:         50
        .size:           2
        .value_kind:     hidden_remainder_x
      - .offset:         52
        .size:           2
        .value_kind:     hidden_remainder_y
      - .offset:         54
        .size:           2
        .value_kind:     hidden_remainder_z
      - .offset:         72
        .size:           8
        .value_kind:     hidden_global_offset_x
      - .offset:         80
        .size:           8
        .value_kind:     hidden_global_offset_y
      - .offset:         88
        .size:           8
        .value_kind:     hidden_global_offset_z
      - .offset:         96
        .size:           2
        .value_kind:     hidden_grid_dims
    .group_segment_fixed_size: 0
    .kernarg_segment_align: 8
    .kernarg_segment_size: 288
    .language:       OpenCL C
    .language_version:
      - 2
      - 0
    .max_flat_workgroup_size: 128
    .name:           _Z9fwht_cudaILi512EEvPKfPflf
    .private_segment_fixed_size: 0
    .sgpr_count:     9
    .sgpr_spill_count: 0
    .symbol:         _Z9fwht_cudaILi512EEvPKfPflf.kd
    .uniform_work_group_size: 1
    .uses_dynamic_stack: false
    .vgpr_count:     42
    .vgpr_spill_count: 0
    .wavefront_size: 32
    .workgroup_processor_mode: 1
amdhsa.target:   amdgcn-amd-amdhsa--gfx1030
amdhsa.version:
  - 1
  - 2
...

	.end_amdgpu_metadata
